;; amdgpu-corpus repo=zjin-lcf/HeCBench kind=compiled arch=gfx1250 opt=O3
	.amdgcn_target "amdgcn-amd-amdhsa--gfx1250"
	.amdhsa_code_object_version 6
	.text
	.protected	_Z11MRCGradientiPKiPKfS2_S2_fPfS3_ ; -- Begin function _Z11MRCGradientiPKiPKfS2_S2_fPfS3_
	.globl	_Z11MRCGradientiPKiPKfS2_S2_fPfS3_
	.p2align	8
	.type	_Z11MRCGradientiPKiPKfS2_S2_fPfS3_,@function
_Z11MRCGradientiPKiPKfS2_S2_fPfS3_:     ; @_Z11MRCGradientiPKiPKfS2_S2_fPfS3_
; %bb.0:
	s_clause 0x1
	s_load_b32 s2, s[0:1], 0x4c
	s_load_b32 s3, s[0:1], 0x0
	s_bfe_u32 s4, ttmp6, 0x4000c
	s_and_b32 s5, ttmp6, 15
	s_add_co_i32 s4, s4, 1
	s_getreg_b32 s6, hwreg(HW_REG_IB_STS2, 6, 4)
	s_mul_i32 s4, ttmp9, s4
	s_delay_alu instid0(SALU_CYCLE_1) | instskip(SKIP_4) | instid1(SALU_CYCLE_1)
	s_add_co_i32 s5, s5, s4
	s_wait_kmcnt 0x0
	s_and_b32 s2, s2, 0xffff
	s_cmp_eq_u32 s6, 0
	s_cselect_b32 s4, ttmp9, s5
	v_mad_u32 v0, s4, s2, v0
	s_mov_b32 s2, exec_lo
	s_delay_alu instid0(VALU_DEP_1)
	v_cmpx_gt_i32_e64 s3, v0
	s_cbranch_execz .LBB0_6
; %bb.1:
	s_load_b256 s[4:11], s[0:1], 0x8
	s_wait_kmcnt 0x0
	s_clause 0x2
	global_load_b32 v2, v0, s[4:5] scale_offset
	global_load_b32 v1, v0, s[6:7] scale_offset
	;; [unrolled: 1-line block ×3, first 2 shown]
	s_wait_xcnt 0x2
	s_load_b32 s4, s[0:1], 0x28
	s_wait_loadcnt 0x2
	v_sub_nc_u32_e32 v3, 0, v2
	s_wait_xcnt 0x0
	s_load_b128 s[0:3], s[0:1], 0x30
	s_wait_loadcnt 0x0
	v_sub_f32_e32 v1, v1, v4
	v_cvt_f32_i32_e32 v3, v3
	s_wait_kmcnt 0x0
	s_delay_alu instid0(VALU_DEP_1) | instskip(SKIP_1) | instid1(VALU_DEP_2)
	v_fma_f32 v4, v1, v3, s4
	v_ashrrev_i32_e32 v1, 31, v0
	v_cmp_ngt_f32_e32 vcc_lo, 0, v4
                                        ; implicit-def: $vgpr4
	s_and_saveexec_b32 s4, vcc_lo
	s_delay_alu instid0(SALU_CYCLE_1)
	s_xor_b32 s4, exec_lo, s4
	s_cbranch_execz .LBB0_3
; %bb.2:
	v_lshlrev_b64_e32 v[4:5], 2, v[0:1]
	v_cvt_f32_i32_e32 v2, v2
	s_delay_alu instid0(VALU_DEP_2)
	v_add_nc_u64_e32 v[6:7], s[10:11], v[4:5]
	global_load_b32 v8, v[6:7], off
	s_wait_xcnt 0x0
	v_add_nc_u64_e32 v[6:7], s[0:1], v[4:5]
	s_wait_loadcnt 0x0
	v_dual_mul_f32 v3, v8, v3 :: v_dual_mul_f32 v4, v8, v2
	global_store_b32 v[6:7], v3, off
.LBB0_3:
	s_wait_xcnt 0x0
	s_or_saveexec_b32 s4, s4
	v_mov_b64_e32 v[2:3], s[2:3]
	s_xor_b32 exec_lo, exec_lo, s4
	s_cbranch_execz .LBB0_5
; %bb.4:
	v_mov_b64_e32 v[2:3], s[0:1]
	v_lshl_add_u64 v[6:7], v[0:1], 2, s[2:3]
	v_mov_b32_e32 v4, 0
	global_store_b32 v[6:7], v4, off
.LBB0_5:
	s_wait_xcnt 0x0
	s_or_b32 exec_lo, exec_lo, s4
	s_delay_alu instid0(VALU_DEP_1)
	v_lshl_add_u64 v[0:1], v[0:1], 2, v[2:3]
	global_store_b32 v[0:1], v4, off
.LBB0_6:
	s_endpgm
	.section	.rodata,"a",@progbits
	.p2align	6, 0x0
	.amdhsa_kernel _Z11MRCGradientiPKiPKfS2_S2_fPfS3_
		.amdhsa_group_segment_fixed_size 0
		.amdhsa_private_segment_fixed_size 0
		.amdhsa_kernarg_size 320
		.amdhsa_user_sgpr_count 2
		.amdhsa_user_sgpr_dispatch_ptr 0
		.amdhsa_user_sgpr_queue_ptr 0
		.amdhsa_user_sgpr_kernarg_segment_ptr 1
		.amdhsa_user_sgpr_dispatch_id 0
		.amdhsa_user_sgpr_kernarg_preload_length 0
		.amdhsa_user_sgpr_kernarg_preload_offset 0
		.amdhsa_user_sgpr_private_segment_size 0
		.amdhsa_wavefront_size32 1
		.amdhsa_uses_dynamic_stack 0
		.amdhsa_enable_private_segment 0
		.amdhsa_system_sgpr_workgroup_id_x 1
		.amdhsa_system_sgpr_workgroup_id_y 0
		.amdhsa_system_sgpr_workgroup_id_z 0
		.amdhsa_system_sgpr_workgroup_info 0
		.amdhsa_system_vgpr_workitem_id 0
		.amdhsa_next_free_vgpr 9
		.amdhsa_next_free_sgpr 12
		.amdhsa_named_barrier_count 0
		.amdhsa_reserve_vcc 1
		.amdhsa_float_round_mode_32 0
		.amdhsa_float_round_mode_16_64 0
		.amdhsa_float_denorm_mode_32 3
		.amdhsa_float_denorm_mode_16_64 3
		.amdhsa_fp16_overflow 0
		.amdhsa_memory_ordered 1
		.amdhsa_forward_progress 1
		.amdhsa_inst_pref_size 3
		.amdhsa_round_robin_scheduling 0
		.amdhsa_exception_fp_ieee_invalid_op 0
		.amdhsa_exception_fp_denorm_src 0
		.amdhsa_exception_fp_ieee_div_zero 0
		.amdhsa_exception_fp_ieee_overflow 0
		.amdhsa_exception_fp_ieee_underflow 0
		.amdhsa_exception_fp_ieee_inexact 0
		.amdhsa_exception_int_div_zero 0
	.end_amdhsa_kernel
	.text
.Lfunc_end0:
	.size	_Z11MRCGradientiPKiPKfS2_S2_fPfS3_, .Lfunc_end0-_Z11MRCGradientiPKiPKfS2_S2_fPfS3_
                                        ; -- End function
	.set _Z11MRCGradientiPKiPKfS2_S2_fPfS3_.num_vgpr, 9
	.set _Z11MRCGradientiPKiPKfS2_S2_fPfS3_.num_agpr, 0
	.set _Z11MRCGradientiPKiPKfS2_S2_fPfS3_.numbered_sgpr, 12
	.set _Z11MRCGradientiPKiPKfS2_S2_fPfS3_.num_named_barrier, 0
	.set _Z11MRCGradientiPKiPKfS2_S2_fPfS3_.private_seg_size, 0
	.set _Z11MRCGradientiPKiPKfS2_S2_fPfS3_.uses_vcc, 1
	.set _Z11MRCGradientiPKiPKfS2_S2_fPfS3_.uses_flat_scratch, 0
	.set _Z11MRCGradientiPKiPKfS2_S2_fPfS3_.has_dyn_sized_stack, 0
	.set _Z11MRCGradientiPKiPKfS2_S2_fPfS3_.has_recursion, 0
	.set _Z11MRCGradientiPKiPKfS2_S2_fPfS3_.has_indirect_call, 0
	.section	.AMDGPU.csdata,"",@progbits
; Kernel info:
; codeLenInByte = 380
; TotalNumSgprs: 14
; NumVgprs: 9
; ScratchSize: 0
; MemoryBound: 0
; FloatMode: 240
; IeeeMode: 1
; LDSByteSize: 0 bytes/workgroup (compile time only)
; SGPRBlocks: 0
; VGPRBlocks: 0
; NumSGPRsForWavesPerEU: 14
; NumVGPRsForWavesPerEU: 9
; NamedBarCnt: 0
; Occupancy: 16
; WaveLimiterHint : 0
; COMPUTE_PGM_RSRC2:SCRATCH_EN: 0
; COMPUTE_PGM_RSRC2:USER_SGPR: 2
; COMPUTE_PGM_RSRC2:TRAP_HANDLER: 0
; COMPUTE_PGM_RSRC2:TGID_X_EN: 1
; COMPUTE_PGM_RSRC2:TGID_Y_EN: 0
; COMPUTE_PGM_RSRC2:TGID_Z_EN: 0
; COMPUTE_PGM_RSRC2:TIDIG_COMP_CNT: 0
	.text
	.protected	_Z12MRCGradient2iPKiPKfS2_S2_fPfS3_ ; -- Begin function _Z12MRCGradient2iPKiPKfS2_S2_fPfS3_
	.globl	_Z12MRCGradient2iPKiPKfS2_S2_fPfS3_
	.p2align	8
	.type	_Z12MRCGradient2iPKiPKfS2_S2_fPfS3_,@function
_Z12MRCGradient2iPKiPKfS2_S2_fPfS3_:    ; @_Z12MRCGradient2iPKiPKfS2_S2_fPfS3_
; %bb.0:
	s_clause 0x1
	s_load_b32 s2, s[0:1], 0x4c
	s_load_b32 s3, s[0:1], 0x0
	s_bfe_u32 s4, ttmp6, 0x4000c
	s_and_b32 s5, ttmp6, 15
	s_add_co_i32 s4, s4, 1
	s_getreg_b32 s6, hwreg(HW_REG_IB_STS2, 6, 4)
	s_mul_i32 s4, ttmp9, s4
	s_delay_alu instid0(SALU_CYCLE_1) | instskip(SKIP_4) | instid1(SALU_CYCLE_1)
	s_add_co_i32 s5, s5, s4
	s_wait_kmcnt 0x0
	s_and_b32 s2, s2, 0xffff
	s_cmp_eq_u32 s6, 0
	s_cselect_b32 s4, ttmp9, s5
	v_mad_u32 v0, s4, s2, v0
	s_mov_b32 s2, exec_lo
	s_delay_alu instid0(VALU_DEP_1)
	v_cmpx_gt_i32_e64 s3, v0
	s_cbranch_execz .LBB1_2
; %bb.1:
	s_load_b256 s[4:11], s[0:1], 0x8
	s_wait_kmcnt 0x0
	s_clause 0x3
	global_load_b32 v1, v0, s[4:5] scale_offset
	global_load_b32 v2, v0, s[6:7] scale_offset
	;; [unrolled: 1-line block ×4, first 2 shown]
	s_clause 0x1
	s_load_b32 s2, s[0:1], 0x28
	s_load_b128 s[4:7], s[0:1], 0x30
	s_wait_loadcnt 0x3
	v_cvt_f32_i32_e32 v1, v1
	s_wait_loadcnt 0x0
	s_delay_alu instid0(VALU_DEP_1) | instskip(NEXT) | instid1(VALU_DEP_1)
	v_dual_sub_f32 v2, v2, v3 :: v_dual_mul_f32 v3, v4, -v1
	v_dual_mul_f32 v2, v2, v1 :: v_dual_mul_f32 v1, v4, v1
	s_wait_kmcnt 0x0
	s_delay_alu instid0(VALU_DEP_1) | instskip(NEXT) | instid1(VALU_DEP_3)
	v_cmp_lt_f32_e32 vcc_lo, s2, v2
	v_cndmask_b32_e64 v2, v3, 0, vcc_lo
	s_delay_alu instid0(VALU_DEP_3)
	v_cndmask_b32_e64 v1, v1, 0, vcc_lo
	s_clause 0x1
	global_store_b32 v0, v2, s[4:5] scale_offset
	global_store_b32 v0, v1, s[6:7] scale_offset
.LBB1_2:
	s_endpgm
	.section	.rodata,"a",@progbits
	.p2align	6, 0x0
	.amdhsa_kernel _Z12MRCGradient2iPKiPKfS2_S2_fPfS3_
		.amdhsa_group_segment_fixed_size 0
		.amdhsa_private_segment_fixed_size 0
		.amdhsa_kernarg_size 320
		.amdhsa_user_sgpr_count 2
		.amdhsa_user_sgpr_dispatch_ptr 0
		.amdhsa_user_sgpr_queue_ptr 0
		.amdhsa_user_sgpr_kernarg_segment_ptr 1
		.amdhsa_user_sgpr_dispatch_id 0
		.amdhsa_user_sgpr_kernarg_preload_length 0
		.amdhsa_user_sgpr_kernarg_preload_offset 0
		.amdhsa_user_sgpr_private_segment_size 0
		.amdhsa_wavefront_size32 1
		.amdhsa_uses_dynamic_stack 0
		.amdhsa_enable_private_segment 0
		.amdhsa_system_sgpr_workgroup_id_x 1
		.amdhsa_system_sgpr_workgroup_id_y 0
		.amdhsa_system_sgpr_workgroup_id_z 0
		.amdhsa_system_sgpr_workgroup_info 0
		.amdhsa_system_vgpr_workitem_id 0
		.amdhsa_next_free_vgpr 5
		.amdhsa_next_free_sgpr 12
		.amdhsa_named_barrier_count 0
		.amdhsa_reserve_vcc 1
		.amdhsa_float_round_mode_32 0
		.amdhsa_float_round_mode_16_64 0
		.amdhsa_float_denorm_mode_32 3
		.amdhsa_float_denorm_mode_16_64 3
		.amdhsa_fp16_overflow 0
		.amdhsa_memory_ordered 1
		.amdhsa_forward_progress 1
		.amdhsa_inst_pref_size 3
		.amdhsa_round_robin_scheduling 0
		.amdhsa_exception_fp_ieee_invalid_op 0
		.amdhsa_exception_fp_denorm_src 0
		.amdhsa_exception_fp_ieee_div_zero 0
		.amdhsa_exception_fp_ieee_overflow 0
		.amdhsa_exception_fp_ieee_underflow 0
		.amdhsa_exception_fp_ieee_inexact 0
		.amdhsa_exception_int_div_zero 0
	.end_amdhsa_kernel
	.text
.Lfunc_end1:
	.size	_Z12MRCGradient2iPKiPKfS2_S2_fPfS3_, .Lfunc_end1-_Z12MRCGradient2iPKiPKfS2_S2_fPfS3_
                                        ; -- End function
	.set _Z12MRCGradient2iPKiPKfS2_S2_fPfS3_.num_vgpr, 5
	.set _Z12MRCGradient2iPKiPKfS2_S2_fPfS3_.num_agpr, 0
	.set _Z12MRCGradient2iPKiPKfS2_S2_fPfS3_.numbered_sgpr, 12
	.set _Z12MRCGradient2iPKiPKfS2_S2_fPfS3_.num_named_barrier, 0
	.set _Z12MRCGradient2iPKiPKfS2_S2_fPfS3_.private_seg_size, 0
	.set _Z12MRCGradient2iPKiPKfS2_S2_fPfS3_.uses_vcc, 1
	.set _Z12MRCGradient2iPKiPKfS2_S2_fPfS3_.uses_flat_scratch, 0
	.set _Z12MRCGradient2iPKiPKfS2_S2_fPfS3_.has_dyn_sized_stack, 0
	.set _Z12MRCGradient2iPKiPKfS2_S2_fPfS3_.has_recursion, 0
	.set _Z12MRCGradient2iPKiPKfS2_S2_fPfS3_.has_indirect_call, 0
	.section	.AMDGPU.csdata,"",@progbits
; Kernel info:
; codeLenInByte = 284
; TotalNumSgprs: 14
; NumVgprs: 5
; ScratchSize: 0
; MemoryBound: 0
; FloatMode: 240
; IeeeMode: 1
; LDSByteSize: 0 bytes/workgroup (compile time only)
; SGPRBlocks: 0
; VGPRBlocks: 0
; NumSGPRsForWavesPerEU: 14
; NumVGPRsForWavesPerEU: 5
; NamedBarCnt: 0
; Occupancy: 16
; WaveLimiterHint : 0
; COMPUTE_PGM_RSRC2:SCRATCH_EN: 0
; COMPUTE_PGM_RSRC2:USER_SGPR: 2
; COMPUTE_PGM_RSRC2:TRAP_HANDLER: 0
; COMPUTE_PGM_RSRC2:TGID_X_EN: 1
; COMPUTE_PGM_RSRC2:TGID_Y_EN: 0
; COMPUTE_PGM_RSRC2:TGID_Z_EN: 0
; COMPUTE_PGM_RSRC2:TIDIG_COMP_CNT: 0
	.text
	.protected	_Z12MRCGradient3iPKiPKfS2_S2_fPfS3_ ; -- Begin function _Z12MRCGradient3iPKiPKfS2_S2_fPfS3_
	.globl	_Z12MRCGradient3iPKiPKfS2_S2_fPfS3_
	.p2align	8
	.type	_Z12MRCGradient3iPKiPKfS2_S2_fPfS3_,@function
_Z12MRCGradient3iPKiPKfS2_S2_fPfS3_:    ; @_Z12MRCGradient3iPKiPKfS2_S2_fPfS3_
; %bb.0:
	s_clause 0x3
	s_load_b32 s2, s[0:1], 0x4c
	s_load_b32 s3, s[0:1], 0x0
	;; [unrolled: 1-line block ×3, first 2 shown]
	s_load_b128 s[12:15], s[0:1], 0x30
	s_bfe_u32 s4, ttmp6, 0x4000c
	s_and_b32 s18, ttmp6, 15
	s_add_co_i32 s17, s4, 1
	s_load_b256 s[4:11], s[0:1], 0x8
	s_wait_xcnt 0x0
	s_mul_i32 s0, ttmp9, s17
	s_getreg_b32 s19, hwreg(HW_REG_IB_STS2, 6, 4)
	s_add_co_i32 s18, s18, s0
	s_wait_kmcnt 0x0
	s_and_b32 s17, s2, 0xffff
	s_cmp_eq_u32 s19, 0
	s_mov_b32 s19, exec_lo
	s_cselect_b32 s0, ttmp9, s18
	s_delay_alu instid0(SALU_CYCLE_1) | instskip(SKIP_1) | instid1(SALU_CYCLE_1)
	v_mad_u32 v0, s0, s17, v0
	s_ashr_i32 s0, s3, 31
	s_lshr_b32 s0, s0, 30
	s_delay_alu instid0(SALU_CYCLE_1) | instskip(NEXT) | instid1(SALU_CYCLE_1)
	s_add_co_i32 s0, s3, s0
	s_ashr_i32 s18, s0, 2
	s_delay_alu instid0(VALU_DEP_1) | instid1(SALU_CYCLE_1)
	v_cmpx_gt_i32_e64 s18, v0
	s_cbranch_execz .LBB2_2
; %bb.1:
	s_clause 0x3
	global_load_b128 v[2:5], v0, s[4:5] scale_offset
	global_load_b128 v[6:9], v0, s[6:7] scale_offset
	global_load_b128 v[10:13], v0, s[8:9] scale_offset
	global_load_b128 v[14:17], v0, s[10:11] scale_offset
	s_wait_loadcnt 0x3
	v_cvt_f32_i32_e32 v3, v3
	v_cvt_f32_i32_e32 v2, v2
	s_wait_loadcnt 0x1
	v_pk_add_f32 v[6:7], v[6:7], v[10:11] neg_lo:[0,1] neg_hi:[0,1]
	v_cvt_f32_i32_e32 v5, v5
	v_cvt_f32_i32_e32 v4, v4
	v_pk_add_f32 v[8:9], v[8:9], v[12:13] neg_lo:[0,1] neg_hi:[0,1]
	s_wait_loadcnt 0x0
	v_pk_mul_f32 v[10:11], v[14:15], v[2:3] neg_lo:[0,1] neg_hi:[0,1]
	v_pk_fma_f32 v[6:7], v[2:3], v[6:7], s[16:17] op_sel_hi:[1,1,0] neg_lo:[1,0,0] neg_hi:[1,0,0]
	v_pk_mul_f32 v[14:15], v[14:15], v[2:3]
	v_pk_mul_f32 v[12:13], v[16:17], v[4:5] neg_lo:[0,1] neg_hi:[0,1]
	v_pk_fma_f32 v[8:9], v[4:5], v[8:9], s[16:17] op_sel_hi:[1,1,0] neg_lo:[1,0,0] neg_hi:[1,0,0]
	v_pk_mul_f32 v[16:17], v[16:17], v[4:5]
	v_cmp_gt_f32_e32 vcc_lo, 0, v7
	v_cmp_gt_f32_e64 s0, 0, v6
	s_delay_alu instid0(VALU_DEP_4) | instskip(SKIP_2) | instid1(VALU_DEP_4)
	v_cmp_gt_f32_e64 s1, 0, v9
	v_cmp_gt_f32_e64 s2, 0, v8
	v_cndmask_b32_e64 v3, v11, 0, vcc_lo
	v_cndmask_b32_e64 v2, v10, 0, s0
	v_cndmask_b32_e64 v7, v15, 0, vcc_lo
	v_cndmask_b32_e64 v5, v13, 0, s1
	v_cndmask_b32_e64 v4, v12, 0, s2
	;; [unrolled: 1-line block ×5, first 2 shown]
	s_clause 0x1
	global_store_b128 v0, v[2:5], s[12:13] scale_offset
	global_store_b128 v0, v[6:9], s[14:15] scale_offset
.LBB2_2:
	s_wait_xcnt 0x0
	s_or_b32 exec_lo, exec_lo, s19
	v_lshl_add_u32 v0, s18, 2, v0
	s_mov_b32 s0, exec_lo
	s_delay_alu instid0(VALU_DEP_1)
	v_cmpx_gt_i32_e64 s3, v0
	s_cbranch_execz .LBB2_5
; %bb.3:
	s_mov_b32 s0, 0
.LBB2_4:                                ; =>This Inner Loop Header: Depth=1
	s_clause 0x3
	global_load_b32 v1, v0, s[4:5] scale_offset
	global_load_b32 v2, v0, s[6:7] scale_offset
	;; [unrolled: 1-line block ×4, first 2 shown]
	s_wait_loadcnt 0x3
	v_cvt_f32_i32_e32 v1, v1
	s_wait_loadcnt 0x0
	s_delay_alu instid0(VALU_DEP_1) | instskip(NEXT) | instid1(VALU_DEP_1)
	v_dual_sub_f32 v2, v2, v3 :: v_dual_mul_f32 v3, v4, -v1
	v_dual_mul_f32 v2, v2, v1 :: v_dual_mul_f32 v1, v4, v1
	s_delay_alu instid0(VALU_DEP_1) | instskip(NEXT) | instid1(VALU_DEP_3)
	v_cmp_lt_f32_e32 vcc_lo, s16, v2
	v_cndmask_b32_e64 v2, v3, 0, vcc_lo
	s_delay_alu instid0(VALU_DEP_3)
	v_cndmask_b32_e64 v1, v1, 0, vcc_lo
	s_clause 0x1
	global_store_b32 v0, v2, s[12:13] scale_offset
	global_store_b32 v0, v1, s[14:15] scale_offset
	s_wait_xcnt 0x0
	v_add_nc_u32_e32 v0, s17, v0
	s_delay_alu instid0(VALU_DEP_1) | instskip(SKIP_1) | instid1(SALU_CYCLE_1)
	v_cmp_le_i32_e32 vcc_lo, s3, v0
	s_or_b32 s0, vcc_lo, s0
	s_and_not1_b32 exec_lo, exec_lo, s0
	s_cbranch_execnz .LBB2_4
.LBB2_5:
	s_endpgm
	.section	.rodata,"a",@progbits
	.p2align	6, 0x0
	.amdhsa_kernel _Z12MRCGradient3iPKiPKfS2_S2_fPfS3_
		.amdhsa_group_segment_fixed_size 0
		.amdhsa_private_segment_fixed_size 0
		.amdhsa_kernarg_size 320
		.amdhsa_user_sgpr_count 2
		.amdhsa_user_sgpr_dispatch_ptr 0
		.amdhsa_user_sgpr_queue_ptr 0
		.amdhsa_user_sgpr_kernarg_segment_ptr 1
		.amdhsa_user_sgpr_dispatch_id 0
		.amdhsa_user_sgpr_kernarg_preload_length 0
		.amdhsa_user_sgpr_kernarg_preload_offset 0
		.amdhsa_user_sgpr_private_segment_size 0
		.amdhsa_wavefront_size32 1
		.amdhsa_uses_dynamic_stack 0
		.amdhsa_enable_private_segment 0
		.amdhsa_system_sgpr_workgroup_id_x 1
		.amdhsa_system_sgpr_workgroup_id_y 0
		.amdhsa_system_sgpr_workgroup_id_z 0
		.amdhsa_system_sgpr_workgroup_info 0
		.amdhsa_system_vgpr_workitem_id 0
		.amdhsa_next_free_vgpr 18
		.amdhsa_next_free_sgpr 20
		.amdhsa_named_barrier_count 0
		.amdhsa_reserve_vcc 1
		.amdhsa_float_round_mode_32 0
		.amdhsa_float_round_mode_16_64 0
		.amdhsa_float_denorm_mode_32 3
		.amdhsa_float_denorm_mode_16_64 3
		.amdhsa_fp16_overflow 0
		.amdhsa_memory_ordered 1
		.amdhsa_forward_progress 1
		.amdhsa_inst_pref_size 5
		.amdhsa_round_robin_scheduling 0
		.amdhsa_exception_fp_ieee_invalid_op 0
		.amdhsa_exception_fp_denorm_src 0
		.amdhsa_exception_fp_ieee_div_zero 0
		.amdhsa_exception_fp_ieee_overflow 0
		.amdhsa_exception_fp_ieee_underflow 0
		.amdhsa_exception_fp_ieee_inexact 0
		.amdhsa_exception_int_div_zero 0
	.end_amdhsa_kernel
	.text
.Lfunc_end2:
	.size	_Z12MRCGradient3iPKiPKfS2_S2_fPfS3_, .Lfunc_end2-_Z12MRCGradient3iPKiPKfS2_S2_fPfS3_
                                        ; -- End function
	.set _Z12MRCGradient3iPKiPKfS2_S2_fPfS3_.num_vgpr, 18
	.set _Z12MRCGradient3iPKiPKfS2_S2_fPfS3_.num_agpr, 0
	.set _Z12MRCGradient3iPKiPKfS2_S2_fPfS3_.numbered_sgpr, 20
	.set _Z12MRCGradient3iPKiPKfS2_S2_fPfS3_.num_named_barrier, 0
	.set _Z12MRCGradient3iPKiPKfS2_S2_fPfS3_.private_seg_size, 0
	.set _Z12MRCGradient3iPKiPKfS2_S2_fPfS3_.uses_vcc, 1
	.set _Z12MRCGradient3iPKiPKfS2_S2_fPfS3_.uses_flat_scratch, 0
	.set _Z12MRCGradient3iPKiPKfS2_S2_fPfS3_.has_dyn_sized_stack, 0
	.set _Z12MRCGradient3iPKiPKfS2_S2_fPfS3_.has_recursion, 0
	.set _Z12MRCGradient3iPKiPKfS2_S2_fPfS3_.has_indirect_call, 0
	.section	.AMDGPU.csdata,"",@progbits
; Kernel info:
; codeLenInByte = 632
; TotalNumSgprs: 22
; NumVgprs: 18
; ScratchSize: 0
; MemoryBound: 0
; FloatMode: 240
; IeeeMode: 1
; LDSByteSize: 0 bytes/workgroup (compile time only)
; SGPRBlocks: 0
; VGPRBlocks: 1
; NumSGPRsForWavesPerEU: 22
; NumVGPRsForWavesPerEU: 18
; NamedBarCnt: 0
; Occupancy: 16
; WaveLimiterHint : 0
; COMPUTE_PGM_RSRC2:SCRATCH_EN: 0
; COMPUTE_PGM_RSRC2:USER_SGPR: 2
; COMPUTE_PGM_RSRC2:TRAP_HANDLER: 0
; COMPUTE_PGM_RSRC2:TGID_X_EN: 1
; COMPUTE_PGM_RSRC2:TGID_Y_EN: 0
; COMPUTE_PGM_RSRC2:TGID_Z_EN: 0
; COMPUTE_PGM_RSRC2:TIDIG_COMP_CNT: 0
	.text
	.p2alignl 7, 3214868480
	.fill 96, 4, 3214868480
	.section	.AMDGPU.gpr_maximums,"",@progbits
	.set amdgpu.max_num_vgpr, 0
	.set amdgpu.max_num_agpr, 0
	.set amdgpu.max_num_sgpr, 0
	.text
	.type	__hip_cuid_36c7e1a4e3cf4f87,@object ; @__hip_cuid_36c7e1a4e3cf4f87
	.section	.bss,"aw",@nobits
	.globl	__hip_cuid_36c7e1a4e3cf4f87
__hip_cuid_36c7e1a4e3cf4f87:
	.byte	0                               ; 0x0
	.size	__hip_cuid_36c7e1a4e3cf4f87, 1

	.ident	"AMD clang version 22.0.0git (https://github.com/RadeonOpenCompute/llvm-project roc-7.2.4 26084 f58b06dce1f9c15707c5f808fd002e18c2accf7e)"
	.section	".note.GNU-stack","",@progbits
	.addrsig
	.addrsig_sym __hip_cuid_36c7e1a4e3cf4f87
	.amdgpu_metadata
---
amdhsa.kernels:
  - .args:
      - .offset:         0
        .size:           4
        .value_kind:     by_value
      - .address_space:  global
        .offset:         8
        .size:           8
        .value_kind:     global_buffer
      - .address_space:  global
        .offset:         16
        .size:           8
        .value_kind:     global_buffer
      - .address_space:  global
        .offset:         24
        .size:           8
        .value_kind:     global_buffer
      - .address_space:  global
        .offset:         32
        .size:           8
        .value_kind:     global_buffer
      - .offset:         40
        .size:           4
        .value_kind:     by_value
      - .actual_access:  write_only
        .address_space:  global
        .offset:         48
        .size:           8
        .value_kind:     global_buffer
      - .actual_access:  write_only
        .address_space:  global
        .offset:         56
        .size:           8
        .value_kind:     global_buffer
      - .offset:         64
        .size:           4
        .value_kind:     hidden_block_count_x
      - .offset:         68
        .size:           4
        .value_kind:     hidden_block_count_y
      - .offset:         72
        .size:           4
        .value_kind:     hidden_block_count_z
      - .offset:         76
        .size:           2
        .value_kind:     hidden_group_size_x
      - .offset:         78
        .size:           2
        .value_kind:     hidden_group_size_y
      - .offset:         80
        .size:           2
        .value_kind:     hidden_group_size_z
      - .offset:         82
        .size:           2
        .value_kind:     hidden_remainder_x
      - .offset:         84
        .size:           2
        .value_kind:     hidden_remainder_y
      - .offset:         86
        .size:           2
        .value_kind:     hidden_remainder_z
      - .offset:         104
        .size:           8
        .value_kind:     hidden_global_offset_x
      - .offset:         112
        .size:           8
        .value_kind:     hidden_global_offset_y
      - .offset:         120
        .size:           8
        .value_kind:     hidden_global_offset_z
      - .offset:         128
        .size:           2
        .value_kind:     hidden_grid_dims
    .group_segment_fixed_size: 0
    .kernarg_segment_align: 8
    .kernarg_segment_size: 320
    .language:       OpenCL C
    .language_version:
      - 2
      - 0
    .max_flat_workgroup_size: 1024
    .name:           _Z11MRCGradientiPKiPKfS2_S2_fPfS3_
    .private_segment_fixed_size: 0
    .sgpr_count:     14
    .sgpr_spill_count: 0
    .symbol:         _Z11MRCGradientiPKiPKfS2_S2_fPfS3_.kd
    .uniform_work_group_size: 1
    .uses_dynamic_stack: false
    .vgpr_count:     9
    .vgpr_spill_count: 0
    .wavefront_size: 32
  - .args:
      - .offset:         0
        .size:           4
        .value_kind:     by_value
      - .address_space:  global
        .offset:         8
        .size:           8
        .value_kind:     global_buffer
      - .address_space:  global
        .offset:         16
        .size:           8
        .value_kind:     global_buffer
      - .address_space:  global
        .offset:         24
        .size:           8
        .value_kind:     global_buffer
      - .address_space:  global
        .offset:         32
        .size:           8
        .value_kind:     global_buffer
      - .offset:         40
        .size:           4
        .value_kind:     by_value
      - .actual_access:  write_only
        .address_space:  global
        .offset:         48
        .size:           8
        .value_kind:     global_buffer
      - .actual_access:  write_only
        .address_space:  global
        .offset:         56
        .size:           8
        .value_kind:     global_buffer
      - .offset:         64
        .size:           4
        .value_kind:     hidden_block_count_x
      - .offset:         68
        .size:           4
        .value_kind:     hidden_block_count_y
      - .offset:         72
        .size:           4
        .value_kind:     hidden_block_count_z
      - .offset:         76
        .size:           2
        .value_kind:     hidden_group_size_x
      - .offset:         78
        .size:           2
        .value_kind:     hidden_group_size_y
      - .offset:         80
        .size:           2
        .value_kind:     hidden_group_size_z
      - .offset:         82
        .size:           2
        .value_kind:     hidden_remainder_x
      - .offset:         84
        .size:           2
        .value_kind:     hidden_remainder_y
      - .offset:         86
        .size:           2
        .value_kind:     hidden_remainder_z
      - .offset:         104
        .size:           8
        .value_kind:     hidden_global_offset_x
      - .offset:         112
        .size:           8
        .value_kind:     hidden_global_offset_y
      - .offset:         120
        .size:           8
        .value_kind:     hidden_global_offset_z
      - .offset:         128
        .size:           2
        .value_kind:     hidden_grid_dims
    .group_segment_fixed_size: 0
    .kernarg_segment_align: 8
    .kernarg_segment_size: 320
    .language:       OpenCL C
    .language_version:
      - 2
      - 0
    .max_flat_workgroup_size: 1024
    .name:           _Z12MRCGradient2iPKiPKfS2_S2_fPfS3_
    .private_segment_fixed_size: 0
    .sgpr_count:     14
    .sgpr_spill_count: 0
    .symbol:         _Z12MRCGradient2iPKiPKfS2_S2_fPfS3_.kd
    .uniform_work_group_size: 1
    .uses_dynamic_stack: false
    .vgpr_count:     5
    .vgpr_spill_count: 0
    .wavefront_size: 32
  - .args:
      - .offset:         0
        .size:           4
        .value_kind:     by_value
      - .address_space:  global
        .offset:         8
        .size:           8
        .value_kind:     global_buffer
      - .address_space:  global
        .offset:         16
        .size:           8
        .value_kind:     global_buffer
      - .address_space:  global
        .offset:         24
        .size:           8
        .value_kind:     global_buffer
      - .address_space:  global
        .offset:         32
        .size:           8
        .value_kind:     global_buffer
      - .offset:         40
        .size:           4
        .value_kind:     by_value
      - .actual_access:  write_only
        .address_space:  global
        .offset:         48
        .size:           8
        .value_kind:     global_buffer
      - .actual_access:  write_only
        .address_space:  global
        .offset:         56
        .size:           8
        .value_kind:     global_buffer
      - .offset:         64
        .size:           4
        .value_kind:     hidden_block_count_x
      - .offset:         68
        .size:           4
        .value_kind:     hidden_block_count_y
      - .offset:         72
        .size:           4
        .value_kind:     hidden_block_count_z
      - .offset:         76
        .size:           2
        .value_kind:     hidden_group_size_x
      - .offset:         78
        .size:           2
        .value_kind:     hidden_group_size_y
      - .offset:         80
        .size:           2
        .value_kind:     hidden_group_size_z
      - .offset:         82
        .size:           2
        .value_kind:     hidden_remainder_x
      - .offset:         84
        .size:           2
        .value_kind:     hidden_remainder_y
      - .offset:         86
        .size:           2
        .value_kind:     hidden_remainder_z
      - .offset:         104
        .size:           8
        .value_kind:     hidden_global_offset_x
      - .offset:         112
        .size:           8
        .value_kind:     hidden_global_offset_y
      - .offset:         120
        .size:           8
        .value_kind:     hidden_global_offset_z
      - .offset:         128
        .size:           2
        .value_kind:     hidden_grid_dims
    .group_segment_fixed_size: 0
    .kernarg_segment_align: 8
    .kernarg_segment_size: 320
    .language:       OpenCL C
    .language_version:
      - 2
      - 0
    .max_flat_workgroup_size: 1024
    .name:           _Z12MRCGradient3iPKiPKfS2_S2_fPfS3_
    .private_segment_fixed_size: 0
    .sgpr_count:     22
    .sgpr_spill_count: 0
    .symbol:         _Z12MRCGradient3iPKiPKfS2_S2_fPfS3_.kd
    .uniform_work_group_size: 1
    .uses_dynamic_stack: false
    .vgpr_count:     18
    .vgpr_spill_count: 0
    .wavefront_size: 32
amdhsa.target:   amdgcn-amd-amdhsa--gfx1250
amdhsa.version:
  - 1
  - 2
...

	.end_amdgpu_metadata
